;; amdgpu-corpus repo=ROCm/rocFFT kind=compiled arch=gfx1201 opt=O3
	.text
	.amdgcn_target "amdgcn-amd-amdhsa--gfx1201"
	.amdhsa_code_object_version 6
	.protected	fft_rtc_back_len26_factors_13_2_wgs_64_tpt_2_halfLds_half_op_CI_CI_unitstride_sbrr_R2C_dirReg ; -- Begin function fft_rtc_back_len26_factors_13_2_wgs_64_tpt_2_halfLds_half_op_CI_CI_unitstride_sbrr_R2C_dirReg
	.globl	fft_rtc_back_len26_factors_13_2_wgs_64_tpt_2_halfLds_half_op_CI_CI_unitstride_sbrr_R2C_dirReg
	.p2align	8
	.type	fft_rtc_back_len26_factors_13_2_wgs_64_tpt_2_halfLds_half_op_CI_CI_unitstride_sbrr_R2C_dirReg,@function
fft_rtc_back_len26_factors_13_2_wgs_64_tpt_2_halfLds_half_op_CI_CI_unitstride_sbrr_R2C_dirReg: ; @fft_rtc_back_len26_factors_13_2_wgs_64_tpt_2_halfLds_half_op_CI_CI_unitstride_sbrr_R2C_dirReg
; %bb.0:
	s_clause 0x2
	s_load_b128 s[8:11], s[0:1], 0x0
	s_load_b128 s[4:7], s[0:1], 0x58
	;; [unrolled: 1-line block ×3, first 2 shown]
	v_lshrrev_b32_e32 v9, 1, v0
	v_mov_b32_e32 v3, 0
	v_mov_b32_e32 v15, 0
	;; [unrolled: 1-line block ×3, first 2 shown]
	s_delay_alu instid0(VALU_DEP_4) | instskip(NEXT) | instid1(VALU_DEP_4)
	v_lshl_or_b32 v7, ttmp9, 5, v9
	v_mov_b32_e32 v8, v3
	s_wait_kmcnt 0x0
	v_cmp_lt_u64_e64 s2, s[10:11], 2
	s_delay_alu instid0(VALU_DEP_1)
	s_and_b32 vcc_lo, exec_lo, s2
	s_cbranch_vccnz .LBB0_8
; %bb.1:
	s_load_b64 s[2:3], s[0:1], 0x10
	v_mov_b32_e32 v15, 0
	v_mov_b32_e32 v16, 0
	s_delay_alu instid0(VALU_DEP_2)
	v_mov_b32_e32 v1, v15
	s_add_nc_u64 s[16:17], s[14:15], 8
	s_add_nc_u64 s[18:19], s[12:13], 8
	s_mov_b64 s[20:21], 1
	v_mov_b32_e32 v2, v16
	s_wait_kmcnt 0x0
	s_add_nc_u64 s[22:23], s[2:3], 8
	s_mov_b32 s3, 0
.LBB0_2:                                ; =>This Inner Loop Header: Depth=1
	s_load_b64 s[24:25], s[22:23], 0x0
                                        ; implicit-def: $vgpr5_vgpr6
	s_mov_b32 s2, exec_lo
	s_wait_kmcnt 0x0
	v_or_b32_e32 v4, s25, v8
	s_delay_alu instid0(VALU_DEP_1)
	v_cmpx_ne_u64_e32 0, v[3:4]
	s_wait_alu 0xfffe
	s_xor_b32 s26, exec_lo, s2
	s_cbranch_execz .LBB0_4
; %bb.3:                                ;   in Loop: Header=BB0_2 Depth=1
	s_cvt_f32_u32 s2, s24
	s_cvt_f32_u32 s27, s25
	s_sub_nc_u64 s[30:31], 0, s[24:25]
	s_wait_alu 0xfffe
	s_delay_alu instid0(SALU_CYCLE_1) | instskip(SKIP_1) | instid1(SALU_CYCLE_2)
	s_fmamk_f32 s2, s27, 0x4f800000, s2
	s_wait_alu 0xfffe
	v_s_rcp_f32 s2, s2
	s_delay_alu instid0(TRANS32_DEP_1) | instskip(SKIP_1) | instid1(SALU_CYCLE_2)
	s_mul_f32 s2, s2, 0x5f7ffffc
	s_wait_alu 0xfffe
	s_mul_f32 s27, s2, 0x2f800000
	s_wait_alu 0xfffe
	s_delay_alu instid0(SALU_CYCLE_2) | instskip(SKIP_1) | instid1(SALU_CYCLE_2)
	s_trunc_f32 s27, s27
	s_wait_alu 0xfffe
	s_fmamk_f32 s2, s27, 0xcf800000, s2
	s_cvt_u32_f32 s29, s27
	s_wait_alu 0xfffe
	s_delay_alu instid0(SALU_CYCLE_1) | instskip(SKIP_1) | instid1(SALU_CYCLE_2)
	s_cvt_u32_f32 s28, s2
	s_wait_alu 0xfffe
	s_mul_u64 s[34:35], s[30:31], s[28:29]
	s_wait_alu 0xfffe
	s_mul_hi_u32 s37, s28, s35
	s_mul_i32 s36, s28, s35
	s_mul_hi_u32 s2, s28, s34
	s_mul_i32 s33, s29, s34
	s_wait_alu 0xfffe
	s_add_nc_u64 s[36:37], s[2:3], s[36:37]
	s_mul_hi_u32 s27, s29, s34
	s_mul_hi_u32 s38, s29, s35
	s_add_co_u32 s2, s36, s33
	s_wait_alu 0xfffe
	s_add_co_ci_u32 s2, s37, s27
	s_mul_i32 s34, s29, s35
	s_add_co_ci_u32 s35, s38, 0
	s_wait_alu 0xfffe
	s_add_nc_u64 s[34:35], s[2:3], s[34:35]
	s_wait_alu 0xfffe
	v_add_co_u32 v4, s2, s28, s34
	s_delay_alu instid0(VALU_DEP_1) | instskip(SKIP_1) | instid1(VALU_DEP_1)
	s_cmp_lg_u32 s2, 0
	s_add_co_ci_u32 s29, s29, s35
	v_readfirstlane_b32 s28, v4
	s_wait_alu 0xfffe
	s_delay_alu instid0(VALU_DEP_1)
	s_mul_u64 s[30:31], s[30:31], s[28:29]
	s_wait_alu 0xfffe
	s_mul_hi_u32 s35, s28, s31
	s_mul_i32 s34, s28, s31
	s_mul_hi_u32 s2, s28, s30
	s_mul_i32 s33, s29, s30
	s_wait_alu 0xfffe
	s_add_nc_u64 s[34:35], s[2:3], s[34:35]
	s_mul_hi_u32 s27, s29, s30
	s_mul_hi_u32 s28, s29, s31
	s_wait_alu 0xfffe
	s_add_co_u32 s2, s34, s33
	s_add_co_ci_u32 s2, s35, s27
	s_mul_i32 s30, s29, s31
	s_add_co_ci_u32 s31, s28, 0
	s_wait_alu 0xfffe
	s_add_nc_u64 s[30:31], s[2:3], s[30:31]
	s_wait_alu 0xfffe
	v_add_co_u32 v6, s2, v4, s30
	s_delay_alu instid0(VALU_DEP_1) | instskip(SKIP_1) | instid1(VALU_DEP_1)
	s_cmp_lg_u32 s2, 0
	s_add_co_ci_u32 s2, s29, s31
	v_mul_hi_u32 v14, v7, v6
	s_wait_alu 0xfffe
	v_mad_co_u64_u32 v[4:5], null, v7, s2, 0
	v_mad_co_u64_u32 v[10:11], null, v8, v6, 0
	;; [unrolled: 1-line block ×3, first 2 shown]
	s_delay_alu instid0(VALU_DEP_3) | instskip(SKIP_1) | instid1(VALU_DEP_4)
	v_add_co_u32 v4, vcc_lo, v14, v4
	s_wait_alu 0xfffd
	v_add_co_ci_u32_e32 v5, vcc_lo, 0, v5, vcc_lo
	s_delay_alu instid0(VALU_DEP_2) | instskip(SKIP_1) | instid1(VALU_DEP_2)
	v_add_co_u32 v4, vcc_lo, v4, v10
	s_wait_alu 0xfffd
	v_add_co_ci_u32_e32 v4, vcc_lo, v5, v11, vcc_lo
	s_wait_alu 0xfffd
	v_add_co_ci_u32_e32 v5, vcc_lo, 0, v13, vcc_lo
	s_delay_alu instid0(VALU_DEP_2) | instskip(SKIP_1) | instid1(VALU_DEP_2)
	v_add_co_u32 v10, vcc_lo, v4, v12
	s_wait_alu 0xfffd
	v_add_co_ci_u32_e32 v6, vcc_lo, 0, v5, vcc_lo
	s_delay_alu instid0(VALU_DEP_2) | instskip(SKIP_1) | instid1(VALU_DEP_3)
	v_mul_lo_u32 v11, s25, v10
	v_mad_co_u64_u32 v[4:5], null, s24, v10, 0
	v_mul_lo_u32 v12, s24, v6
	s_delay_alu instid0(VALU_DEP_2) | instskip(NEXT) | instid1(VALU_DEP_2)
	v_sub_co_u32 v4, vcc_lo, v7, v4
	v_add3_u32 v5, v5, v12, v11
	s_delay_alu instid0(VALU_DEP_1) | instskip(SKIP_1) | instid1(VALU_DEP_1)
	v_sub_nc_u32_e32 v11, v8, v5
	s_wait_alu 0xfffd
	v_subrev_co_ci_u32_e64 v11, s2, s25, v11, vcc_lo
	v_add_co_u32 v12, s2, v10, 2
	s_wait_alu 0xf1ff
	v_add_co_ci_u32_e64 v13, s2, 0, v6, s2
	v_sub_co_u32 v14, s2, v4, s24
	v_sub_co_ci_u32_e32 v5, vcc_lo, v8, v5, vcc_lo
	s_wait_alu 0xf1ff
	v_subrev_co_ci_u32_e64 v11, s2, 0, v11, s2
	s_delay_alu instid0(VALU_DEP_3) | instskip(NEXT) | instid1(VALU_DEP_3)
	v_cmp_le_u32_e32 vcc_lo, s24, v14
	v_cmp_eq_u32_e64 s2, s25, v5
	s_wait_alu 0xfffd
	v_cndmask_b32_e64 v14, 0, -1, vcc_lo
	v_cmp_le_u32_e32 vcc_lo, s25, v11
	s_wait_alu 0xfffd
	v_cndmask_b32_e64 v17, 0, -1, vcc_lo
	v_cmp_le_u32_e32 vcc_lo, s24, v4
	;; [unrolled: 3-line block ×3, first 2 shown]
	s_wait_alu 0xfffd
	v_cndmask_b32_e64 v18, 0, -1, vcc_lo
	v_cmp_eq_u32_e32 vcc_lo, s25, v11
	s_wait_alu 0xf1ff
	s_delay_alu instid0(VALU_DEP_2)
	v_cndmask_b32_e64 v4, v18, v4, s2
	s_wait_alu 0xfffd
	v_cndmask_b32_e32 v11, v17, v14, vcc_lo
	v_add_co_u32 v14, vcc_lo, v10, 1
	s_wait_alu 0xfffd
	v_add_co_ci_u32_e32 v17, vcc_lo, 0, v6, vcc_lo
	s_delay_alu instid0(VALU_DEP_3) | instskip(SKIP_1) | instid1(VALU_DEP_2)
	v_cmp_ne_u32_e32 vcc_lo, 0, v11
	s_wait_alu 0xfffd
	v_cndmask_b32_e32 v5, v17, v13, vcc_lo
	v_cndmask_b32_e32 v11, v14, v12, vcc_lo
	v_cmp_ne_u32_e32 vcc_lo, 0, v4
	s_wait_alu 0xfffd
	s_delay_alu instid0(VALU_DEP_3) | instskip(NEXT) | instid1(VALU_DEP_3)
	v_cndmask_b32_e32 v6, v6, v5, vcc_lo
	v_cndmask_b32_e32 v5, v10, v11, vcc_lo
.LBB0_4:                                ;   in Loop: Header=BB0_2 Depth=1
	s_wait_alu 0xfffe
	s_and_not1_saveexec_b32 s2, s26
	s_cbranch_execz .LBB0_6
; %bb.5:                                ;   in Loop: Header=BB0_2 Depth=1
	v_cvt_f32_u32_e32 v4, s24
	s_sub_co_i32 s26, 0, s24
	s_delay_alu instid0(VALU_DEP_1) | instskip(NEXT) | instid1(TRANS32_DEP_1)
	v_rcp_iflag_f32_e32 v4, v4
	v_mul_f32_e32 v4, 0x4f7ffffe, v4
	s_delay_alu instid0(VALU_DEP_1) | instskip(SKIP_1) | instid1(VALU_DEP_1)
	v_cvt_u32_f32_e32 v4, v4
	s_wait_alu 0xfffe
	v_mul_lo_u32 v5, s26, v4
	s_delay_alu instid0(VALU_DEP_1) | instskip(NEXT) | instid1(VALU_DEP_1)
	v_mul_hi_u32 v5, v4, v5
	v_add_nc_u32_e32 v4, v4, v5
	s_delay_alu instid0(VALU_DEP_1) | instskip(NEXT) | instid1(VALU_DEP_1)
	v_mul_hi_u32 v4, v7, v4
	v_mul_lo_u32 v5, v4, s24
	v_add_nc_u32_e32 v6, 1, v4
	s_delay_alu instid0(VALU_DEP_2) | instskip(NEXT) | instid1(VALU_DEP_1)
	v_sub_nc_u32_e32 v5, v7, v5
	v_subrev_nc_u32_e32 v10, s24, v5
	v_cmp_le_u32_e32 vcc_lo, s24, v5
	s_wait_alu 0xfffd
	s_delay_alu instid0(VALU_DEP_2) | instskip(SKIP_1) | instid1(VALU_DEP_2)
	v_cndmask_b32_e32 v5, v5, v10, vcc_lo
	v_cndmask_b32_e32 v4, v4, v6, vcc_lo
	v_cmp_le_u32_e32 vcc_lo, s24, v5
	s_delay_alu instid0(VALU_DEP_2) | instskip(SKIP_1) | instid1(VALU_DEP_1)
	v_add_nc_u32_e32 v6, 1, v4
	s_wait_alu 0xfffd
	v_dual_cndmask_b32 v5, v4, v6 :: v_dual_mov_b32 v6, v3
.LBB0_6:                                ;   in Loop: Header=BB0_2 Depth=1
	s_wait_alu 0xfffe
	s_or_b32 exec_lo, exec_lo, s2
	s_delay_alu instid0(VALU_DEP_1) | instskip(NEXT) | instid1(VALU_DEP_2)
	v_mul_lo_u32 v4, v6, s24
	v_mul_lo_u32 v12, v5, s25
	s_load_b64 s[26:27], s[18:19], 0x0
	v_mad_co_u64_u32 v[10:11], null, v5, s24, 0
	s_load_b64 s[24:25], s[16:17], 0x0
	s_add_nc_u64 s[20:21], s[20:21], 1
	s_add_nc_u64 s[16:17], s[16:17], 8
	s_wait_alu 0xfffe
	v_cmp_ge_u64_e64 s2, s[20:21], s[10:11]
	s_add_nc_u64 s[18:19], s[18:19], 8
	s_add_nc_u64 s[22:23], s[22:23], 8
	v_add3_u32 v4, v11, v12, v4
	v_sub_co_u32 v7, vcc_lo, v7, v10
	s_wait_alu 0xfffd
	s_delay_alu instid0(VALU_DEP_2) | instskip(SKIP_2) | instid1(VALU_DEP_1)
	v_sub_co_ci_u32_e32 v4, vcc_lo, v8, v4, vcc_lo
	s_and_b32 vcc_lo, exec_lo, s2
	s_wait_kmcnt 0x0
	v_mul_lo_u32 v8, s26, v4
	v_mul_lo_u32 v10, s27, v7
	v_mad_co_u64_u32 v[15:16], null, s26, v7, v[15:16]
	v_mul_lo_u32 v4, s24, v4
	v_mul_lo_u32 v11, s25, v7
	v_mad_co_u64_u32 v[1:2], null, s24, v7, v[1:2]
	s_delay_alu instid0(VALU_DEP_4) | instskip(NEXT) | instid1(VALU_DEP_2)
	v_add3_u32 v16, v10, v16, v8
	v_add3_u32 v2, v11, v2, v4
	s_wait_alu 0xfffe
	s_cbranch_vccnz .LBB0_9
; %bb.7:                                ;   in Loop: Header=BB0_2 Depth=1
	v_dual_mov_b32 v8, v6 :: v_dual_mov_b32 v7, v5
	s_branch .LBB0_2
.LBB0_8:
	v_dual_mov_b32 v1, v15 :: v_dual_mov_b32 v2, v16
	v_dual_mov_b32 v5, v7 :: v_dual_mov_b32 v6, v8
.LBB0_9:
	s_load_b64 s[0:1], s[0:1], 0x28
	v_and_b32_e32 v3, 1, v0
	s_lshl_b64 s[10:11], s[10:11], 3
                                        ; implicit-def: $vgpr8
                                        ; implicit-def: $vgpr12
                                        ; implicit-def: $vgpr14
                                        ; implicit-def: $vgpr10
                                        ; implicit-def: $vgpr7
	s_wait_kmcnt 0x0
	v_cmp_gt_u64_e32 vcc_lo, s[0:1], v[5:6]
	v_cmp_le_u64_e64 s0, s[0:1], v[5:6]
	s_delay_alu instid0(VALU_DEP_1)
	s_and_saveexec_b32 s1, s0
	s_wait_alu 0xfffe
	s_xor_b32 s0, exec_lo, s1
; %bb.10:
	v_and_b32_e32 v3, 1, v0
                                        ; implicit-def: $vgpr15_vgpr16
	s_delay_alu instid0(VALU_DEP_1)
	v_or_b32_e32 v8, 2, v3
	v_or_b32_e32 v12, 4, v3
	;; [unrolled: 1-line block ×5, first 2 shown]
; %bb.11:
	s_wait_alu 0xfffe
	s_or_saveexec_b32 s1, s0
	v_mul_u32_u24_e32 v0, 27, v9
	s_add_nc_u64 s[2:3], s[14:15], s[10:11]
	s_delay_alu instid0(VALU_DEP_1)
	v_lshlrev_b32_e32 v4, 2, v0
	s_wait_alu 0xfffe
	s_xor_b32 exec_lo, exec_lo, s1
	s_cbranch_execz .LBB0_13
; %bb.12:
	s_add_nc_u64 s[10:11], s[12:13], s[10:11]
	v_lshlrev_b32_e32 v11, 2, v3
	s_load_b64 s[10:11], s[10:11], 0x0
	v_or_b32_e32 v12, 4, v3
	v_or_b32_e32 v14, 6, v3
	s_wait_kmcnt 0x0
	v_mul_lo_u32 v0, s11, v5
	v_mul_lo_u32 v9, s10, v6
	v_mad_co_u64_u32 v[7:8], null, s10, v5, 0
	s_delay_alu instid0(VALU_DEP_1) | instskip(SKIP_1) | instid1(VALU_DEP_2)
	v_add3_u32 v8, v8, v9, v0
	v_lshlrev_b64_e32 v[9:10], 2, v[15:16]
	v_lshlrev_b64_e32 v[7:8], 2, v[7:8]
	s_delay_alu instid0(VALU_DEP_1) | instskip(SKIP_1) | instid1(VALU_DEP_2)
	v_add_co_u32 v0, s0, s4, v7
	s_wait_alu 0xf1ff
	v_add_co_ci_u32_e64 v7, s0, s5, v8, s0
	s_delay_alu instid0(VALU_DEP_2) | instskip(SKIP_1) | instid1(VALU_DEP_2)
	v_add_co_u32 v0, s0, v0, v9
	s_wait_alu 0xf1ff
	v_add_co_ci_u32_e64 v8, s0, v7, v10, s0
	v_or_b32_e32 v10, 8, v3
	s_delay_alu instid0(VALU_DEP_3) | instskip(SKIP_1) | instid1(VALU_DEP_3)
	v_add_co_u32 v7, s0, v0, v11
	s_wait_alu 0xf1ff
	v_add_co_ci_u32_e64 v8, s0, 0, v8, s0
	v_add3_u32 v11, 0, v4, v11
	s_clause 0xc
	global_load_b32 v0, v[7:8], off
	global_load_b32 v9, v[7:8], off offset:8
	global_load_b32 v13, v[7:8], off offset:16
	;; [unrolled: 1-line block ×12, first 2 shown]
	v_or_b32_e32 v8, 2, v3
	v_or_b32_e32 v7, 10, v3
	s_wait_loadcnt 0xb
	ds_store_2addr_b32 v11, v0, v9 offset1:2
	s_wait_loadcnt 0x9
	ds_store_2addr_b32 v11, v13, v15 offset0:4 offset1:6
	s_wait_loadcnt 0x7
	ds_store_2addr_b32 v11, v16, v17 offset0:8 offset1:10
	;; [unrolled: 2-line block ×5, first 2 shown]
	s_wait_loadcnt 0x0
	ds_store_b32 v11, v24 offset:96
.LBB0_13:
	s_or_b32 exec_lo, exec_lo, s1
	v_lshlrev_b32_e32 v31, 2, v3
	v_add_nc_u32_e32 v0, 0, v4
	s_load_b64 s[4:5], s[2:3], 0x0
	global_wb scope:SCOPE_SE
	s_wait_dscnt 0x0
	s_wait_kmcnt 0x0
	s_barrier_signal -1
	v_add3_u32 v32, 0, v31, v4
	v_add_nc_u32_e32 v30, v0, v31
	s_barrier_wait -1
	global_inv scope:SCOPE_SE
	v_cmp_ne_u32_e64 s1, 0, v3
	ds_load_2addr_b32 v[15:16], v32 offset0:2 offset1:4
	ds_load_b32 v9, v30
	ds_load_2addr_b32 v[21:22], v32 offset0:22 offset1:24
	ds_load_2addr_b32 v[23:24], v32 offset0:6 offset1:8
	;; [unrolled: 1-line block ×5, first 2 shown]
	v_mad_u32_u24 v4, v3, 48, v32
	global_wb scope:SCOPE_SE
	s_wait_dscnt 0x0
	s_barrier_signal -1
	s_barrier_wait -1
	global_inv scope:SCOPE_SE
	v_pk_add_f16 v13, v9, v15
	v_pk_add_f16 v18, v22, v15
	v_pk_add_f16 v11, v15, v22 neg_lo:[0,1] neg_hi:[0,1]
	v_pk_add_f16 v20, v16, v21 neg_lo:[0,1] neg_hi:[0,1]
	v_pk_add_f16 v35, v21, v16
	v_pk_add_f16 v13, v13, v16
	v_lshrrev_b32_e32 v17, 16, v18
	v_lshrrev_b32_e32 v16, 16, v11
	v_pk_mul_f16 v19, 0xba95, v20 op_sel_hi:[0,1]
	v_pk_mul_f16 v15, 0xb770, v11 op_sel_hi:[0,1]
	v_pk_add_f16 v38, v13, v23
	v_mul_f16_e32 v40, 0x388b, v17
	v_mul_f16_e32 v39, 0xba95, v16
	v_mul_f16_e32 v41, 0xbbf1, v16
	v_mul_f16_e32 v42, 0x2fb7, v17
	v_mul_f16_e32 v43, 0xbb7b, v16
	v_mul_f16_e32 v44, 0xb5ac, v17
	v_mul_f16_e32 v45, 0xb94e, v16
	v_mul_f16_e32 v46, 0xb9fd, v17
	v_pk_fma_f16 v16, 0x388b, v35, v19 op_sel:[0,0,1] op_sel_hi:[0,1,0]
	v_pk_fma_f16 v17, 0x388b, v35, v19 op_sel:[0,0,1] op_sel_hi:[0,1,0] neg_lo:[0,0,1] neg_hi:[0,0,1]
	v_pk_add_f16 v19, v38, v24
	v_pk_fma_f16 v13, 0x3b15, v18, v15 op_sel:[0,0,1] op_sel_hi:[0,1,0]
	v_pk_fma_f16 v15, 0x3b15, v18, v15 op_sel:[0,0,1] op_sel_hi:[0,1,0] neg_lo:[0,0,1] neg_hi:[0,0,1]
	v_lshrrev_b32_e32 v29, 16, v9
	v_lshrrev_b32_e32 v36, 16, v20
	v_pk_add_f16 v19, v19, v25
	v_fmamk_f16 v49, v11, 0x3a95, v40
	v_bfi_b32 v38, 0xffff, v13, v15
	v_fmac_f16_e32 v40, 0xba95, v11
	v_fmamk_f16 v51, v11, 0x3bf1, v42
	v_pk_add_f16 v19, v19, v26
	v_fmac_f16_e32 v42, 0xbbf1, v11
	v_fmamk_f16 v52, v18, 0xb5ac, v43
	v_fmamk_f16 v53, v11, 0x3b7b, v44
	v_fma_f16 v43, v18, 0xb5ac, -v43
	v_pk_add_f16 v19, v19, v27
	v_fmac_f16_e32 v44, 0xbb7b, v11
	v_fmamk_f16 v54, v18, 0xb9fd, v45
	v_fmamk_f16 v55, v11, 0x394e, v46
	v_fmac_f16_e32 v46, 0xb94e, v11
	v_pk_add_f16 v19, v19, v28
	v_lshrrev_b32_e32 v37, 16, v35
	v_mul_f16_e32 v47, 0xbb7b, v36
	v_fmamk_f16 v48, v18, 0x388b, v39
	v_fma_f16 v39, v18, 0x388b, -v39
	v_pk_add_f16 v19, v19, v33
	v_fmamk_f16 v50, v18, 0x2fb7, v41
	v_fma_f16 v45, v18, 0xb9fd, -v45
	v_bfi_b32 v56, 0xffff, v16, v17
	v_pk_add_f16 v38, v9, v38
	v_pk_add_f16 v19, v19, v34
	v_add_f16_e32 v49, v29, v49
	v_add_f16_e32 v40, v29, v40
	;; [unrolled: 1-line block ×5, first 2 shown]
	v_pk_add_f16 v19, v19, v21
	v_add_f16_e32 v21, v9, v43
	v_add_f16_e32 v43, v29, v44
	;; [unrolled: 1-line block ×5, first 2 shown]
	v_mul_f16_e32 v46, 0xb3a8, v36
	v_fma_f16 v41, v18, 0x2fb7, -v41
	v_add_f16_e32 v48, v9, v48
	v_add_f16_e32 v39, v9, v39
	;; [unrolled: 1-line block ×3, first 2 shown]
	v_pk_add_f16 v19, v19, v22
	v_add_f16_e32 v22, v9, v45
	v_fmamk_f16 v45, v35, 0xb5ac, v47
	v_mul_f16_e32 v55, 0xb5ac, v37
	v_pk_add_f16 v38, v56, v38
	v_fma_f16 v47, v35, 0xb5ac, -v47
	v_fmamk_f16 v56, v35, 0xbbc4, v46
	v_add_f16_e32 v41, v9, v41
	v_add_f16_e32 v45, v45, v48
	v_fmamk_f16 v48, v20, 0x3b7b, v55
	v_fmac_f16_e32 v55, 0xbb7b, v20
	v_mul_f16_e32 v57, 0xbbc4, v37
	v_add_f16_e32 v39, v47, v39
	v_add_f16_e32 v47, v56, v50
	v_mul_f16_e32 v50, 0x394e, v36
	v_fma_f16 v46, v35, 0xbbc4, -v46
	v_add_f16_e32 v48, v48, v49
	v_add_f16_e32 v40, v55, v40
	v_fmamk_f16 v49, v20, 0x33a8, v57
	v_mul_f16_e32 v55, 0xb9fd, v37
	v_add_f16_e32 v41, v46, v41
	v_fma_f16 v46, v35, 0xb9fd, -v50
	v_add_f16_e32 v52, v9, v52
	v_add_f16_e32 v49, v49, v51
	v_fmamk_f16 v51, v35, 0xb9fd, v50
	v_fmamk_f16 v56, v20, 0xb94e, v55
	v_mul_f16_e32 v36, 0x3bf1, v36
	v_mul_f16_e32 v37, 0x2fb7, v37
	v_add_f16_e32 v21, v46, v21
	v_pk_add_f16 v46, v23, v34 neg_lo:[0,1] neg_hi:[0,1]
	v_add_f16_e32 v50, v51, v52
	v_add_f16_e32 v51, v56, v53
	v_fmamk_f16 v52, v35, 0x2fb7, v36
	v_fmamk_f16 v53, v20, 0xbbf1, v37
	v_pk_add_f16 v23, v34, v23
	v_pk_mul_f16 v34, 0xbbf1, v46 op_sel_hi:[0,1]
	v_fmac_f16_e32 v57, 0xb3a8, v20
	v_fmac_f16_e32 v55, 0x394e, v20
	v_add_f16_e32 v44, v52, v44
	v_lshrrev_b32_e32 v52, 16, v46
	v_add_f16_e32 v53, v53, v54
	v_pk_fma_f16 v54, 0x2fb7, v23, v34 op_sel:[0,0,1] op_sel_hi:[0,1,0]
	v_pk_fma_f16 v34, 0x2fb7, v23, v34 op_sel:[0,0,1] op_sel_hi:[0,1,0] neg_lo:[0,0,1] neg_hi:[0,0,1]
	v_add_f16_e32 v42, v57, v42
	v_add_f16_e32 v43, v55, v43
	v_fma_f16 v36, v35, 0x2fb7, -v36
	v_mul_f16_e32 v55, 0xb3a8, v52
	v_lshrrev_b32_e32 v56, 16, v23
	v_fmac_f16_e32 v37, 0x3bf1, v20
	v_bfi_b32 v57, 0xffff, v54, v34
	v_add_f16_e32 v22, v36, v22
	v_fmamk_f16 v36, v23, 0xbbc4, v55
	v_mul_f16_e32 v58, 0xbbc4, v56
	v_add_f16_e32 v29, v37, v29
	v_pk_add_f16 v37, v57, v38
	v_mul_f16_e32 v38, 0x3b7b, v52
	v_add_f16_e32 v36, v36, v45
	v_fmamk_f16 v45, v46, 0x33a8, v58
	v_fma_f16 v55, v23, 0xbbc4, -v55
	v_mul_f16_e32 v59, 0xb5ac, v56
	v_fmamk_f16 v57, v23, 0xb5ac, v38
	v_fmac_f16_e32 v58, 0xb3a8, v46
	v_add_f16_e32 v45, v45, v48
	v_add_f16_e32 v39, v55, v39
	v_fmamk_f16 v48, v46, 0xbb7b, v59
	v_add_f16_e32 v47, v57, v47
	v_mul_f16_e32 v55, 0x3770, v52
	v_mul_f16_e32 v57, 0x3b15, v56
	v_add_f16_e32 v40, v58, v40
	v_fma_f16 v38, v23, 0xb5ac, -v38
	v_fmac_f16_e32 v59, 0x3b7b, v46
	v_add_f16_e32 v48, v48, v49
	v_fmamk_f16 v49, v23, 0x3b15, v55
	v_fmamk_f16 v58, v46, 0xb770, v57
	v_add_f16_e32 v38, v38, v41
	v_add_f16_e32 v41, v59, v42
	v_fma_f16 v42, v23, 0x3b15, -v55
	v_add_f16_e32 v49, v49, v50
	v_add_f16_e32 v50, v58, v51
	v_mul_f16_e32 v51, 0xba95, v52
	v_fmac_f16_e32 v57, 0x3770, v46
	v_add_f16_e32 v21, v42, v21
	v_pk_add_f16 v42, v24, v33 neg_lo:[0,1] neg_hi:[0,1]
	v_pk_add_f16 v24, v33, v24
	v_fmamk_f16 v55, v23, 0x388b, v51
	v_mul_f16_e32 v52, 0x388b, v56
	v_add_f16_e32 v43, v57, v43
	v_fma_f16 v51, v23, 0x388b, -v51
	v_lshrrev_b32_e32 v58, 16, v24
	v_add_f16_e32 v44, v55, v44
	v_lshrrev_b32_e32 v55, 16, v42
	v_fmamk_f16 v56, v46, 0x3a95, v52
	v_pk_mul_f16 v33, 0xbb7b, v42 op_sel_hi:[0,1]
	v_add_f16_e32 v22, v51, v22
	v_mul_f16_e32 v60, 0xb9fd, v58
	v_mul_f16_e32 v57, 0x394e, v55
	v_add_f16_e32 v53, v56, v53
	v_pk_fma_f16 v56, 0xb5ac, v24, v33 op_sel:[0,0,1] op_sel_hi:[0,1,0]
	v_pk_fma_f16 v33, 0xb5ac, v24, v33 op_sel:[0,0,1] op_sel_hi:[0,1,0] neg_lo:[0,0,1] neg_hi:[0,0,1]
	v_fmac_f16_e32 v52, 0xba95, v46
	v_fmamk_f16 v51, v24, 0xb9fd, v57
	v_fma_f16 v57, v24, 0xb9fd, -v57
	v_mul_f16_e32 v61, 0x3b15, v58
	v_bfi_b32 v59, 0xffff, v56, v33
	v_add_f16_e32 v29, v52, v29
	v_add_f16_e32 v36, v51, v36
	v_fmamk_f16 v51, v42, 0xb94e, v60
	v_mul_f16_e32 v52, 0x3770, v55
	v_add_f16_e32 v39, v57, v39
	v_mul_f16_e32 v57, 0xbbf1, v55
	v_pk_add_f16 v37, v59, v37
	v_add_f16_e32 v45, v51, v45
	v_fmamk_f16 v51, v42, 0xb770, v61
	v_fmamk_f16 v59, v24, 0x3b15, v52
	v_fma_f16 v52, v24, 0x3b15, -v52
	v_fmac_f16_e32 v60, 0x394e, v42
	v_fmac_f16_e32 v61, 0x3770, v42
	v_add_f16_e32 v48, v51, v48
	v_fmamk_f16 v51, v24, 0x2fb7, v57
	v_add_f16_e32 v38, v52, v38
	v_fma_f16 v52, v24, 0x2fb7, -v57
	v_add_f16_e32 v47, v59, v47
	v_mul_f16_e32 v59, 0x2fb7, v58
	v_add_f16_e32 v49, v51, v49
	v_mul_f16_e32 v51, 0x33a8, v55
	v_add_f16_e32 v21, v52, v21
	v_pk_add_f16 v52, v25, v28 neg_lo:[0,1] neg_hi:[0,1]
	v_add_f16_e32 v40, v60, v40
	v_fmamk_f16 v60, v42, 0x3bf1, v59
	v_fmamk_f16 v57, v24, 0xbbc4, v51
	v_mul_f16_e32 v55, 0xbbc4, v58
	v_fmac_f16_e32 v59, 0xbbf1, v42
	v_pk_add_f16 v25, v28, v25
	v_add_f16_e32 v50, v60, v50
	v_add_f16_e32 v44, v57, v44
	v_lshrrev_b32_e32 v57, 16, v52
	v_fmamk_f16 v58, v42, 0xb3a8, v55
	v_pk_mul_f16 v28, 0xb94e, v52 op_sel_hi:[0,1]
	v_add_f16_e32 v43, v59, v43
	v_fma_f16 v51, v24, 0xbbc4, -v51
	v_mul_f16_e32 v59, 0x3bf1, v57
	v_lshrrev_b32_e32 v60, 16, v25
	v_add_f16_e32 v53, v58, v53
	v_pk_fma_f16 v58, 0xb9fd, v25, v28 op_sel:[0,0,1] op_sel_hi:[0,1,0]
	v_pk_fma_f16 v28, 0xb9fd, v25, v28 op_sel:[0,0,1] op_sel_hi:[0,1,0] neg_lo:[0,0,1] neg_hi:[0,0,1]
	v_fmac_f16_e32 v55, 0x33a8, v42
	v_add_f16_e32 v22, v51, v22
	v_fmamk_f16 v51, v25, 0x2fb7, v59
	v_mul_f16_e32 v62, 0x2fb7, v60
	v_add_f16_e32 v41, v61, v41
	v_bfi_b32 v61, 0xffff, v58, v28
	v_add_f16_e32 v29, v55, v29
	v_mul_f16_e32 v55, 0xba95, v57
	v_add_f16_e32 v36, v51, v36
	v_fmamk_f16 v51, v52, 0xbbf1, v62
	v_fma_f16 v59, v25, 0x2fb7, -v59
	v_mul_f16_e32 v63, 0x388b, v60
	v_pk_add_f16 v37, v61, v37
	v_fmamk_f16 v61, v25, 0x388b, v55
	v_add_f16_e32 v45, v51, v45
	v_add_f16_e32 v39, v59, v39
	v_fmamk_f16 v51, v52, 0x3a95, v63
	v_mul_f16_e32 v59, 0x33a8, v57
	v_fma_f16 v55, v25, 0x388b, -v55
	v_fmac_f16_e32 v62, 0x3bf1, v52
	v_add_f16_e32 v47, v61, v47
	v_add_f16_e32 v48, v51, v48
	v_fmamk_f16 v51, v25, 0xbbc4, v59
	v_add_f16_e32 v38, v55, v38
	v_fma_f16 v55, v25, 0xbbc4, -v59
	v_mul_f16_e32 v61, 0xbbc4, v60
	v_add_f16_e32 v40, v62, v40
	v_add_f16_e32 v49, v51, v49
	v_mul_f16_e32 v51, 0x3770, v57
	v_mul_f16_e32 v57, 0x3b15, v60
	v_add_f16_e32 v21, v55, v21
	v_pk_add_f16 v55, v26, v27 neg_lo:[0,1] neg_hi:[0,1]
	v_fmamk_f16 v62, v52, 0xb3a8, v61
	v_fmac_f16_e32 v61, 0x33a8, v52
	v_fmamk_f16 v59, v25, 0x3b15, v51
	v_fmamk_f16 v60, v52, 0xb770, v57
	v_pk_add_f16 v26, v27, v26
	v_pk_mul_f16 v27, 0xb3a8, v55 op_sel_hi:[0,1]
	v_fmac_f16_e32 v63, 0xba95, v52
	v_add_f16_e32 v43, v61, v43
	v_add_f16_e32 v44, v59, v44
	;; [unrolled: 1-line block ×3, first 2 shown]
	v_lshrrev_b32_e32 v59, 16, v55
	v_pk_fma_f16 v60, 0xbbc4, v26, v27 op_sel:[0,0,1] op_sel_hi:[0,1,0]
	v_pk_fma_f16 v27, 0xbbc4, v26, v27 op_sel:[0,0,1] op_sel_hi:[0,1,0] neg_lo:[0,0,1] neg_hi:[0,0,1]
	v_lshrrev_b32_e32 v61, 16, v26
	v_add_f16_e32 v41, v63, v41
	v_add_f16_e32 v50, v62, v50
	v_fma_f16 v51, v25, 0x3b15, -v51
	v_mul_f16_e32 v62, 0x3770, v59
	v_fmac_f16_e32 v57, 0x3770, v52
	v_bfi_b32 v63, 0xffff, v60, v27
	v_mul_f16_e32 v64, 0x3b15, v61
	v_add_f16_e32 v22, v51, v22
	v_fmamk_f16 v51, v26, 0x3b15, v62
	v_add_f16_e32 v29, v57, v29
	v_pk_add_f16 v37, v63, v37
	v_fmamk_f16 v57, v55, 0xb770, v64
	v_mul_f16_e32 v63, 0xb94e, v59
	v_add_f16_e32 v36, v51, v36
	v_fma_f16 v51, v26, 0x3b15, -v62
	v_mul_f16_e32 v62, 0xb9fd, v61
	v_add_f16_e32 v45, v57, v45
	v_fmamk_f16 v57, v26, 0xb9fd, v63
	v_fmac_f16_e32 v64, 0x3770, v55
	v_add_f16_e32 v39, v51, v39
	v_mul_f16_e32 v51, 0x3a95, v59
	v_mul_f16_e32 v65, 0x388b, v61
	v_add_f16_e32 v47, v57, v47
	v_fmamk_f16 v57, v55, 0x394e, v62
	v_add_f16_e32 v40, v64, v40
	v_fmamk_f16 v64, v26, 0x388b, v51
	v_fma_f16 v51, v26, 0x388b, -v51
	v_mul_f16_e32 v59, 0xbb7b, v59
	v_add_f16_e32 v48, v57, v48
	v_fmamk_f16 v57, v55, 0xba95, v65
	v_mul_f16_e32 v61, 0xb5ac, v61
	v_add_f16_e32 v21, v51, v21
	v_fmamk_f16 v51, v26, 0xb5ac, v59
	v_pk_mul_f16 v18, 0xbbc4, v18 op_sel_hi:[0,1]
	v_add_f16_e32 v50, v57, v50
	v_fmamk_f16 v57, v55, 0x3b7b, v61
	v_pk_mul_f16 v35, 0x3b15, v35 op_sel_hi:[0,1]
	v_add_f16_e32 v44, v51, v44
	v_fma_f16 v59, v26, 0xb5ac, -v59
	v_pk_mul_f16 v23, 0xb9fd, v23 op_sel_hi:[0,1]
	v_add_f16_e32 v51, v57, v53
	v_pk_fma_f16 v53, 0xb3a8, v11, v18 op_sel:[0,0,1] op_sel_hi:[0,1,0]
	v_pk_fma_f16 v11, 0xb3a8, v11, v18 op_sel:[0,0,1] op_sel_hi:[0,1,0] neg_lo:[0,1,0] neg_hi:[0,1,0]
	v_pk_fma_f16 v18, 0x3770, v20, v35 op_sel:[0,0,1] op_sel_hi:[0,1,0]
	v_add_f16_e32 v22, v59, v22
	v_pack_b32_f16 v47, v47, v48
	v_alignbit_b32 v57, s0, v53, 16
	v_pk_add_f16 v11, v9, v11 op_sel:[1,0] op_sel_hi:[0,1]
	v_alignbit_b32 v59, s0, v18, 16
	v_pk_fma_f16 v20, 0x3770, v20, v35 op_sel:[0,0,1] op_sel_hi:[0,1,0] neg_lo:[0,1,0] neg_hi:[0,1,0]
	v_pk_fma_f16 v35, 0xb94e, v46, v23 op_sel:[0,0,1] op_sel_hi:[0,1,0]
	v_pk_add_f16 v48, v9, v57
	v_alignbit_b32 v57, s0, v9, 16
	v_pk_mul_f16 v24, 0x388b, v24 op_sel_hi:[0,1]
	v_pk_add_f16 v11, v20, v11
	v_alignbit_b32 v20, s0, v35, 16
	v_pk_add_f16 v48, v59, v48
	v_pk_add_f16 v53, v57, v53
	v_pk_fma_f16 v23, 0xb94e, v46, v23 op_sel:[0,0,1] op_sel_hi:[0,1,0] neg_lo:[0,1,0] neg_hi:[0,1,0]
	v_pk_fma_f16 v46, 0x3a95, v42, v24 op_sel:[0,0,1] op_sel_hi:[0,1,0]
	v_bfi_b32 v13, 0xffff, v15, v13
	v_pk_mul_f16 v25, 0xb5ac, v25 op_sel_hi:[0,1]
	v_pk_add_f16 v18, v18, v53
	v_pk_add_f16 v20, v20, v48
	;; [unrolled: 1-line block ×3, first 2 shown]
	v_alignbit_b32 v23, s0, v46, 16
	v_pk_add_f16 v9, v9, v13
	v_bfi_b32 v13, 0xffff, v17, v16
	v_pk_fma_f16 v24, 0x3a95, v42, v24 op_sel:[0,0,1] op_sel_hi:[0,1,0] neg_lo:[0,1,0] neg_hi:[0,1,0]
	v_pk_fma_f16 v42, 0xbb7b, v52, v25 op_sel:[0,0,1] op_sel_hi:[0,1,0]
	v_pk_add_f16 v18, v35, v18
	v_pk_add_f16 v15, v23, v20
	v_pk_mul_f16 v23, 0x2fb7, v26 op_sel_hi:[0,1]
	v_pk_add_f16 v9, v13, v9
	v_bfi_b32 v13, 0xffff, v34, v54
	v_pk_add_f16 v11, v24, v11
	v_alignbit_b32 v20, s0, v42, 16
	v_pk_add_f16 v16, v46, v18
	v_pk_fma_f16 v17, 0xbb7b, v52, v25 op_sel:[0,0,1] op_sel_hi:[0,1,0] neg_lo:[0,1,0] neg_hi:[0,1,0]
	v_pk_fma_f16 v18, 0x3bf1, v55, v23 op_sel:[0,0,1] op_sel_hi:[0,1,0]
	v_pk_add_f16 v9, v13, v9
	v_bfi_b32 v13, 0xffff, v33, v56
	v_pk_add_f16 v15, v20, v15
	v_pk_add_f16 v11, v17, v11
	;; [unrolled: 1-line block ×3, first 2 shown]
	v_alignbit_b32 v17, s0, v18, 16
	v_pk_fma_f16 v20, 0x3bf1, v55, v23 op_sel:[0,0,1] op_sel_hi:[0,1,0] neg_lo:[0,1,0] neg_hi:[0,1,0]
	v_fmac_f16_e32 v65, 0x3a95, v55
	v_fmac_f16_e32 v61, 0xbb7b, v55
	v_fma_f16 v63, v26, 0xb9fd, -v63
	v_fmac_f16_e32 v62, 0xb94e, v55
	v_pk_add_f16 v9, v13, v9
	v_bfi_b32 v13, 0xffff, v28, v58
	v_add_f16_e32 v49, v64, v49
	v_pk_add_f16 v15, v17, v15
	v_pk_add_f16 v11, v20, v11
	;; [unrolled: 1-line block ×3, first 2 shown]
	v_add_f16_e32 v43, v65, v43
	v_add_f16_e32 v29, v61, v29
	;; [unrolled: 1-line block ×4, first 2 shown]
	v_pk_add_f16 v9, v13, v9
	v_bfi_b32 v13, 0xffff, v27, v60
	v_pack_b32_f16 v23, v36, v45
	v_pack_b32_f16 v17, v44, v51
	;; [unrolled: 1-line block ×3, first 2 shown]
	v_alignbit_b32 v20, v16, v11, 16
	v_pack_b32_f16 v11, v15, v11
	v_pack_b32_f16 v15, v21, v43
	;; [unrolled: 1-line block ×5, first 2 shown]
	v_pk_add_f16 v16, v13, v9
	ds_store_2addr_b32 v4, v19, v37 offset1:1
	ds_store_2addr_b32 v4, v23, v47 offset0:2 offset1:3
	ds_store_2addr_b32 v4, v18, v17 offset0:4 offset1:5
	;; [unrolled: 1-line block ×5, first 2 shown]
	ds_store_b32 v4, v16 offset:48
	v_mov_b32_e32 v20, 0
	v_mov_b32_e32 v21, 0
	v_lshl_add_u32 v37, v8, 2, v0
	v_lshl_add_u32 v36, v12, 2, v0
	;; [unrolled: 1-line block ×4, first 2 shown]
	global_wb scope:SCOPE_SE
	s_wait_dscnt 0x0
	s_barrier_signal -1
	s_barrier_wait -1
	global_inv scope:SCOPE_SE
	ds_load_2addr_b32 v[22:23], v32 offset0:13 offset1:15
	ds_load_2addr_b32 v[24:25], v32 offset0:17 offset1:19
	;; [unrolled: 1-line block ×3, first 2 shown]
	v_lshl_add_u32 v33, v7, 2, v0
	ds_load_b32 v39, v30
	ds_load_b32 v40, v37
	;; [unrolled: 1-line block ×6, first 2 shown]
	v_cmp_eq_u32_e64 s0, 0, v3
	v_lshrrev_b32_e32 v21, 16, v16
                                        ; implicit-def: $vgpr38
	s_delay_alu instid0(VALU_DEP_2)
	s_and_saveexec_b32 s2, s0
	s_cbranch_execz .LBB0_15
; %bb.14:
	ds_load_2addr_b32 v[16:17], v0 offset0:12 offset1:25
	v_mov_b32_e32 v20, 12
	v_mov_b32_e32 v21, 0
	s_wait_dscnt 0x0
	v_lshrrev_b32_e32 v21, 16, v16
	v_lshrrev_b32_e32 v38, 16, v17
.LBB0_15:
	s_wait_alu 0xfffe
	s_or_b32 exec_lo, exec_lo, s2
	v_mov_b32_e32 v4, 0
	s_delay_alu instid0(VALU_DEP_1)
	v_mov_b32_e32 v9, v4
	v_mov_b32_e32 v13, v4
	v_lshlrev_b64_e32 v[18:19], 2, v[3:4]
	v_mov_b32_e32 v15, v4
	v_mov_b32_e32 v11, v4
	v_lshlrev_b64_e32 v[45:46], 2, v[8:9]
	v_lshlrev_b64_e32 v[8:9], 2, v[12:13]
	v_add_co_u32 v28, s2, s8, v18
	v_lshlrev_b64_e32 v[47:48], 2, v[14:15]
	s_wait_alu 0xf1ff
	v_add_co_ci_u32_e64 v29, s2, s9, v19, s2
	s_delay_alu instid0(VALU_DEP_4)
	v_add_co_u32 v13, s2, s8, v8
	v_mov_b32_e32 v8, v4
	s_wait_alu 0xf1ff
	v_add_co_ci_u32_e64 v14, s2, s9, v9, s2
	v_lshlrev_b64_e32 v[9:10], 2, v[10:11]
	v_add_co_u32 v11, s2, s8, v47
	v_lshlrev_b64_e32 v[7:8], 2, v[7:8]
	s_wait_alu 0xf1ff
	v_add_co_ci_u32_e64 v12, s2, s9, v48, s2
	s_delay_alu instid0(VALU_DEP_4)
	v_add_co_u32 v9, s2, s8, v9
	s_wait_alu 0xf1ff
	v_add_co_ci_u32_e64 v10, s2, s9, v10, s2
	v_add_co_u32 v7, s2, s8, v7
	s_wait_alu 0xf1ff
	v_add_co_ci_u32_e64 v8, s2, s9, v8, s2
	;; [unrolled: 3-line block ×3, first 2 shown]
	s_clause 0x5
	global_load_b32 v4, v[7:8], off
	global_load_b32 v15, v[9:10], off
	;; [unrolled: 1-line block ×6, first 2 shown]
	global_wb scope:SCOPE_SE
	s_wait_loadcnt_dscnt 0x0
	s_barrier_signal -1
	s_barrier_wait -1
	global_inv scope:SCOPE_SE
	v_pk_mul_f16 v49, v4, v27 op_sel:[0,1]
	v_pk_mul_f16 v50, v15, v26 op_sel:[0,1]
	;; [unrolled: 1-line block ×6, first 2 shown]
	v_pk_fma_f16 v55, v4, v27, v49 op_sel:[0,0,1] op_sel_hi:[1,1,0]
	v_pk_fma_f16 v4, v4, v27, v49 op_sel:[0,0,1] op_sel_hi:[1,0,0] neg_lo:[1,0,0] neg_hi:[1,0,0]
	v_pk_fma_f16 v27, v15, v26, v50 op_sel:[0,0,1] op_sel_hi:[1,1,0]
	v_pk_fma_f16 v15, v15, v26, v50 op_sel:[0,0,1] op_sel_hi:[1,0,0] neg_lo:[1,0,0] neg_hi:[1,0,0]
	;; [unrolled: 2-line block ×6, first 2 shown]
	v_bfi_b32 v22, 0xffff, v49, v22
	v_bfi_b32 v25, 0xffff, v26, v25
	;; [unrolled: 1-line block ×6, first 2 shown]
	v_pk_add_f16 v22, v39, v22 neg_lo:[0,1] neg_hi:[0,1]
	v_pk_add_f16 v24, v41, v24 neg_lo:[0,1] neg_hi:[0,1]
	v_pk_add_f16 v25, v42, v25 neg_lo:[0,1] neg_hi:[0,1]
	v_pk_add_f16 v23, v40, v23 neg_lo:[0,1] neg_hi:[0,1]
	v_pk_add_f16 v15, v43, v15 neg_lo:[0,1] neg_hi:[0,1]
	v_pk_add_f16 v4, v44, v4 neg_lo:[0,1] neg_hi:[0,1]
	v_pk_fma_f16 v27, v39, 2.0, v22 op_sel_hi:[1,0,1] neg_lo:[0,0,1] neg_hi:[0,0,1]
	s_delay_alu instid0(VALU_DEP_4)
	v_pk_fma_f16 v39, v40, 2.0, v23 op_sel_hi:[1,0,1] neg_lo:[0,0,1] neg_hi:[0,0,1]
	v_pk_fma_f16 v40, v41, 2.0, v24 op_sel_hi:[1,0,1] neg_lo:[0,0,1] neg_hi:[0,0,1]
	;; [unrolled: 1-line block ×5, first 2 shown]
	ds_store_2addr_b32 v32, v27, v22 offset1:13
	ds_store_2addr_b32 v37, v39, v23 offset1:13
	ds_store_2addr_b32 v36, v40, v24 offset1:13
	ds_store_2addr_b32 v35, v41, v25 offset1:13
	ds_store_2addr_b32 v34, v42, v15 offset1:13
	ds_store_2addr_b32 v33, v26, v4 offset1:13
	s_and_saveexec_b32 s2, s0
	s_cbranch_execz .LBB0_17
; %bb.16:
	v_lshlrev_b32_e32 v4, 2, v20
	global_load_b32 v4, v4, s[8:9]
	s_wait_loadcnt 0x0
	v_lshrrev_b32_e32 v15, 16, v4
	s_delay_alu instid0(VALU_DEP_1) | instskip(SKIP_1) | instid1(VALU_DEP_2)
	v_mul_f16_e32 v20, v38, v15
	v_mul_f16_e32 v15, v17, v15
	v_fmac_f16_e32 v20, v17, v4
	s_delay_alu instid0(VALU_DEP_2) | instskip(NEXT) | instid1(VALU_DEP_2)
	v_fma_f16 v4, v38, v4, -v15
	v_sub_f16_e32 v15, v16, v20
	s_delay_alu instid0(VALU_DEP_2) | instskip(NEXT) | instid1(VALU_DEP_2)
	v_sub_f16_e32 v4, v21, v4
	v_fma_f16 v16, v16, 2.0, -v15
	s_delay_alu instid0(VALU_DEP_2) | instskip(SKIP_1) | instid1(VALU_DEP_2)
	v_fma_f16 v17, v21, 2.0, -v4
	v_pack_b32_f16 v4, v15, v4
	v_pack_b32_f16 v16, v16, v17
	ds_store_2addr_b32 v0, v16, v4 offset0:12 offset1:25
.LBB0_17:
	s_wait_alu 0xfffe
	s_or_b32 exec_lo, exec_lo, s2
	global_wb scope:SCOPE_SE
	s_wait_dscnt 0x0
	s_barrier_signal -1
	s_barrier_wait -1
	global_inv scope:SCOPE_SE
	ds_load_b32 v20, v30
	v_sub_nc_u32_e32 v4, v0, v31
                                        ; implicit-def: $vgpr17
                                        ; implicit-def: $vgpr15
                                        ; implicit-def: $vgpr16
	s_wait_dscnt 0x0
	v_lshrrev_b32_e32 v21, 16, v20
	s_and_saveexec_b32 s2, s1
	s_wait_alu 0xfffe
	s_xor_b32 s1, exec_lo, s2
	s_cbranch_execz .LBB0_19
; %bb.18:
	global_load_b32 v17, v[28:29], off offset:52
	ds_load_b32 v15, v4 offset:104
	s_wait_dscnt 0x0
	v_lshrrev_b32_e32 v16, 16, v15
	v_sub_f16_e32 v22, v20, v15
	v_add_f16_e32 v15, v15, v20
	s_delay_alu instid0(VALU_DEP_3) | instskip(SKIP_1) | instid1(VALU_DEP_4)
	v_add_f16_e32 v23, v16, v21
	v_sub_f16_e32 v16, v21, v16
	v_mul_f16_e32 v21, 0.5, v22
	s_delay_alu instid0(VALU_DEP_3) | instskip(NEXT) | instid1(VALU_DEP_3)
	v_mul_f16_e32 v20, 0.5, v23
	v_mul_f16_e32 v16, 0.5, v16
	s_wait_loadcnt 0x0
	v_lshrrev_b32_e32 v22, 16, v17
	s_delay_alu instid0(VALU_DEP_1) | instskip(NEXT) | instid1(VALU_DEP_3)
	v_mul_f16_e32 v23, v22, v21
	v_fma_f16 v24, v20, v22, v16
	v_fma_f16 v22, v20, v22, -v16
	s_delay_alu instid0(VALU_DEP_3) | instskip(SKIP_1) | instid1(VALU_DEP_4)
	v_fma_f16 v25, 0.5, v15, v23
	v_fma_f16 v15, v15, 0.5, -v23
	v_fma_f16 v16, -v17, v21, v24
	s_delay_alu instid0(VALU_DEP_3) | instskip(NEXT) | instid1(VALU_DEP_3)
	v_fmac_f16_e32 v25, v17, v20
	v_fma_f16 v15, -v17, v20, v15
	v_fma_f16 v17, -v17, v21, v22
                                        ; implicit-def: $vgpr21
                                        ; implicit-def: $vgpr20
	ds_store_b16 v30, v25
.LBB0_19:
	s_wait_alu 0xfffe
	s_and_not1_saveexec_b32 s1, s1
	s_cbranch_execz .LBB0_21
; %bb.20:
	ds_load_u16 v16, v0 offset:54
	v_add_f16_e32 v22, v21, v20
	v_sub_f16_e32 v15, v20, v21
	v_mov_b32_e32 v17, 0
	s_wait_dscnt 0x0
	v_xor_b32_e32 v20, 0x8000, v16
	v_mov_b32_e32 v16, 0
	ds_store_b16 v30, v22
	ds_store_b16 v0, v20 offset:54
.LBB0_21:
	s_wait_alu 0xfffe
	s_or_b32 exec_lo, exec_lo, s1
	s_clause 0x4
	global_load_b32 v18, v[18:19], off offset:52
	global_load_b32 v13, v[13:14], off offset:52
	global_load_b32 v11, v[11:12], off offset:52
	global_load_b32 v9, v[9:10], off offset:52
	global_load_b32 v7, v[7:8], off offset:52
	v_perm_b32 v8, v17, v15, 0x5040100
	ds_store_b16 v30, v16 offset:2
	ds_load_b32 v10, v4 offset:96
	ds_store_b32 v4, v8 offset:104
	ds_load_b32 v8, v37
	s_wait_dscnt 0x0
	v_pk_add_f16 v12, v8, v10 neg_lo:[0,1] neg_hi:[0,1]
	v_pk_add_f16 v8, v8, v10
	s_delay_alu instid0(VALU_DEP_1) | instskip(SKIP_1) | instid1(VALU_DEP_2)
	v_bfi_b32 v10, 0xffff, v12, v8
	v_bfi_b32 v8, 0xffff, v8, v12
	v_pk_mul_f16 v10, v10, 0.5 op_sel_hi:[1,0]
	s_delay_alu instid0(VALU_DEP_2) | instskip(SKIP_1) | instid1(VALU_DEP_1)
	v_pk_mul_f16 v8, v8, 0.5 op_sel_hi:[1,0]
	s_wait_loadcnt 0x4
	v_pk_fma_f16 v12, v18, v10, v8 op_sel:[1,0,0]
	v_pk_mul_f16 v14, v18, v10 op_sel_hi:[0,1]
	v_pk_fma_f16 v15, v18, v10, v8 op_sel:[1,0,0] neg_lo:[1,0,0] neg_hi:[1,0,0]
	v_pk_fma_f16 v8, v18, v10, v8 op_sel:[1,0,0] neg_lo:[0,0,1] neg_hi:[0,0,1]
	s_delay_alu instid0(VALU_DEP_3) | instskip(SKIP_1) | instid1(VALU_DEP_4)
	v_pk_add_f16 v10, v12, v14 op_sel:[0,1] op_sel_hi:[1,0]
	v_pk_add_f16 v12, v12, v14 op_sel:[0,1] op_sel_hi:[1,0] neg_lo:[0,1] neg_hi:[0,1]
	v_pk_add_f16 v15, v15, v14 op_sel:[0,1] op_sel_hi:[1,0] neg_lo:[0,1] neg_hi:[0,1]
	s_delay_alu instid0(VALU_DEP_4) | instskip(NEXT) | instid1(VALU_DEP_3)
	v_pk_add_f16 v8, v8, v14 op_sel:[0,1] op_sel_hi:[1,0] neg_lo:[0,1] neg_hi:[0,1]
	v_bfi_b32 v10, 0xffff, v10, v12
	s_delay_alu instid0(VALU_DEP_2)
	v_bfi_b32 v8, 0xffff, v15, v8
	ds_store_b32 v37, v10
	ds_store_b32 v4, v8 offset:96
	ds_load_b32 v8, v36
	ds_load_b32 v10, v4 offset:88
	s_wait_dscnt 0x0
	v_pk_add_f16 v12, v8, v10 neg_lo:[0,1] neg_hi:[0,1]
	v_pk_add_f16 v8, v8, v10
	s_delay_alu instid0(VALU_DEP_1) | instskip(SKIP_1) | instid1(VALU_DEP_2)
	v_bfi_b32 v10, 0xffff, v12, v8
	v_bfi_b32 v8, 0xffff, v8, v12
	v_pk_mul_f16 v10, v10, 0.5 op_sel_hi:[1,0]
	s_delay_alu instid0(VALU_DEP_2) | instskip(SKIP_1) | instid1(VALU_DEP_2)
	v_pk_mul_f16 v8, v8, 0.5 op_sel_hi:[1,0]
	s_wait_loadcnt 0x3
	v_pk_mul_f16 v14, v13, v10 op_sel_hi:[0,1]
	s_delay_alu instid0(VALU_DEP_2) | instskip(SKIP_2) | instid1(VALU_DEP_3)
	v_pk_fma_f16 v12, v13, v10, v8 op_sel:[1,0,0]
	v_pk_fma_f16 v15, v13, v10, v8 op_sel:[1,0,0] neg_lo:[1,0,0] neg_hi:[1,0,0]
	v_pk_fma_f16 v8, v13, v10, v8 op_sel:[1,0,0] neg_lo:[0,0,1] neg_hi:[0,0,1]
	v_pk_add_f16 v10, v12, v14 op_sel:[0,1] op_sel_hi:[1,0]
	v_pk_add_f16 v12, v12, v14 op_sel:[0,1] op_sel_hi:[1,0] neg_lo:[0,1] neg_hi:[0,1]
	s_delay_alu instid0(VALU_DEP_4) | instskip(NEXT) | instid1(VALU_DEP_4)
	v_pk_add_f16 v13, v15, v14 op_sel:[0,1] op_sel_hi:[1,0] neg_lo:[0,1] neg_hi:[0,1]
	v_pk_add_f16 v8, v8, v14 op_sel:[0,1] op_sel_hi:[1,0] neg_lo:[0,1] neg_hi:[0,1]
	s_delay_alu instid0(VALU_DEP_3) | instskip(NEXT) | instid1(VALU_DEP_2)
	v_bfi_b32 v10, 0xffff, v10, v12
	v_bfi_b32 v8, 0xffff, v13, v8
	ds_store_b32 v36, v10
	ds_store_b32 v4, v8 offset:88
	ds_load_b32 v8, v35
	ds_load_b32 v10, v4 offset:80
	s_wait_dscnt 0x0
	v_pk_add_f16 v12, v8, v10 neg_lo:[0,1] neg_hi:[0,1]
	v_pk_add_f16 v8, v8, v10
	s_delay_alu instid0(VALU_DEP_1) | instskip(SKIP_1) | instid1(VALU_DEP_2)
	v_bfi_b32 v10, 0xffff, v12, v8
	v_bfi_b32 v8, 0xffff, v8, v12
	v_pk_mul_f16 v10, v10, 0.5 op_sel_hi:[1,0]
	s_delay_alu instid0(VALU_DEP_2) | instskip(SKIP_1) | instid1(VALU_DEP_2)
	v_pk_mul_f16 v8, v8, 0.5 op_sel_hi:[1,0]
	s_wait_loadcnt 0x2
	v_pk_mul_f16 v13, v11, v10 op_sel_hi:[0,1]
	s_delay_alu instid0(VALU_DEP_2) | instskip(SKIP_2) | instid1(VALU_DEP_3)
	v_pk_fma_f16 v12, v11, v10, v8 op_sel:[1,0,0]
	v_pk_fma_f16 v14, v11, v10, v8 op_sel:[1,0,0] neg_lo:[1,0,0] neg_hi:[1,0,0]
	v_pk_fma_f16 v8, v11, v10, v8 op_sel:[1,0,0] neg_lo:[0,0,1] neg_hi:[0,0,1]
	v_pk_add_f16 v10, v12, v13 op_sel:[0,1] op_sel_hi:[1,0]
	v_pk_add_f16 v11, v12, v13 op_sel:[0,1] op_sel_hi:[1,0] neg_lo:[0,1] neg_hi:[0,1]
	s_delay_alu instid0(VALU_DEP_4) | instskip(NEXT) | instid1(VALU_DEP_4)
	v_pk_add_f16 v12, v14, v13 op_sel:[0,1] op_sel_hi:[1,0] neg_lo:[0,1] neg_hi:[0,1]
	v_pk_add_f16 v8, v8, v13 op_sel:[0,1] op_sel_hi:[1,0] neg_lo:[0,1] neg_hi:[0,1]
	s_delay_alu instid0(VALU_DEP_3) | instskip(NEXT) | instid1(VALU_DEP_2)
	v_bfi_b32 v10, 0xffff, v10, v11
	;; [unrolled: 27-line block ×4, first 2 shown]
	v_bfi_b32 v7, 0xffff, v10, v7
	ds_store_b32 v33, v8
	ds_store_b32 v4, v7 offset:64
	s_and_saveexec_b32 s1, s0
	s_cbranch_execz .LBB0_23
; %bb.22:
	v_mov_b32_e32 v4, 0
	ds_load_2addr_b32 v[7:8], v0 offset0:12 offset1:14
	global_load_b32 v4, v4, s[8:9] offset:100
	s_wait_dscnt 0x0
	v_pk_add_f16 v9, v7, v8 neg_lo:[0,1] neg_hi:[0,1]
	v_pk_add_f16 v7, v7, v8
	s_delay_alu instid0(VALU_DEP_1) | instskip(SKIP_1) | instid1(VALU_DEP_2)
	v_bfi_b32 v8, 0xffff, v9, v7
	v_bfi_b32 v7, 0xffff, v7, v9
	v_pk_mul_f16 v8, v8, 0.5 op_sel_hi:[1,0]
	s_delay_alu instid0(VALU_DEP_2) | instskip(SKIP_1) | instid1(VALU_DEP_2)
	v_pk_mul_f16 v10, v7, 0.5 op_sel_hi:[1,0]
	s_wait_loadcnt 0x0
	v_pk_mul_f16 v9, v4, v8 op_sel:[1,0]
	v_pk_mul_f16 v4, v4, v8 op_sel_hi:[0,1]
	s_delay_alu instid0(VALU_DEP_2) | instskip(SKIP_2) | instid1(VALU_DEP_3)
	v_pk_fma_f16 v7, v7, 0.5, v9 op_sel_hi:[1,0,1]
	v_bfi_b32 v8, 0xffff, v10, v9
	v_bfi_b32 v9, 0xffff, v9, v10
	v_pk_add_f16 v10, v7, v4 op_sel:[0,1] op_sel_hi:[1,0]
	v_pk_add_f16 v7, v7, v4 op_sel:[0,1] op_sel_hi:[1,0] neg_lo:[0,1] neg_hi:[0,1]
	s_delay_alu instid0(VALU_DEP_3) | instskip(NEXT) | instid1(VALU_DEP_2)
	v_pk_add_f16 v8, v8, v9 neg_lo:[0,1] neg_hi:[0,1]
	v_bfi_b32 v7, 0xffff, v10, v7
	s_delay_alu instid0(VALU_DEP_2)
	v_pk_add_f16 v4, v8, v4 op_sel:[0,1] op_sel_hi:[1,0] neg_lo:[0,1] neg_hi:[0,1]
	ds_store_2addr_b32 v0, v7, v4 offset0:12 offset1:14
.LBB0_23:
	s_wait_alu 0xfffe
	s_or_b32 exec_lo, exec_lo, s1
	global_wb scope:SCOPE_SE
	s_wait_dscnt 0x0
	s_barrier_signal -1
	s_barrier_wait -1
	global_inv scope:SCOPE_SE
	s_and_saveexec_b32 s0, vcc_lo
	s_cbranch_execz .LBB0_26
; %bb.24:
	v_mul_lo_u32 v8, s5, v5
	v_mul_lo_u32 v9, s4, v6
	v_mad_co_u64_u32 v[6:7], null, s4, v5, 0
	v_mov_b32_e32 v4, 0
	v_lshl_add_u32 v5, v3, 2, v0
	v_lshlrev_b64_e32 v[0:1], 2, v[1:2]
	v_add_nc_u32_e32 v10, 4, v3
	s_delay_alu instid0(VALU_DEP_4) | instskip(SKIP_4) | instid1(VALU_DEP_4)
	v_dual_mov_b32 v21, v4 :: v_dual_add_nc_u32 v20, 6, v3
	v_add3_u32 v7, v7, v9, v8
	v_dual_mov_b32 v9, v4 :: v_dual_add_nc_u32 v8, 2, v3
	v_lshlrev_b64_e32 v[12:13], 2, v[3:4]
	v_mov_b32_e32 v11, v4
	v_lshlrev_b64_e32 v[6:7], 2, v[6:7]
	v_dual_mov_b32 v23, v4 :: v_dual_add_nc_u32 v22, 8, v3
	ds_load_2addr_b32 v[14:15], v5 offset1:2
	ds_load_2addr_b32 v[16:17], v5 offset0:4 offset1:6
	ds_load_2addr_b32 v[18:19], v5 offset0:8 offset1:10
	v_lshlrev_b64_e32 v[10:11], 2, v[10:11]
	v_lshlrev_b64_e32 v[20:21], 2, v[20:21]
	v_add_co_u32 v2, vcc_lo, s6, v6
	s_wait_alu 0xfffd
	v_add_co_ci_u32_e32 v6, vcc_lo, s7, v7, vcc_lo
	v_dual_mov_b32 v25, v4 :: v_dual_add_nc_u32 v24, 10, v3
	s_delay_alu instid0(VALU_DEP_3) | instskip(SKIP_1) | instid1(VALU_DEP_3)
	v_add_co_u32 v0, vcc_lo, v2, v0
	s_wait_alu 0xfffd
	v_add_co_ci_u32_e32 v1, vcc_lo, v6, v1, vcc_lo
	v_lshlrev_b64_e32 v[6:7], 2, v[8:9]
	s_delay_alu instid0(VALU_DEP_3) | instskip(SKIP_1) | instid1(VALU_DEP_3)
	v_add_co_u32 v8, vcc_lo, v0, v12
	s_wait_alu 0xfffd
	v_add_co_ci_u32_e32 v9, vcc_lo, v1, v13, vcc_lo
	v_lshlrev_b64_e32 v[22:23], 2, v[22:23]
	s_delay_alu instid0(VALU_DEP_4)
	v_add_co_u32 v6, vcc_lo, v0, v6
	s_wait_alu 0xfffd
	v_add_co_ci_u32_e32 v7, vcc_lo, v1, v7, vcc_lo
	v_add_co_u32 v10, vcc_lo, v0, v10
	v_dual_mov_b32 v27, v4 :: v_dual_add_nc_u32 v26, 12, v3
	s_wait_alu 0xfffd
	v_add_co_ci_u32_e32 v11, vcc_lo, v1, v11, vcc_lo
	ds_load_2addr_b32 v[12:13], v5 offset0:12 offset1:14
	v_add_co_u32 v20, vcc_lo, v0, v20
	v_lshlrev_b64_e32 v[24:25], 2, v[24:25]
	v_dual_mov_b32 v29, v4 :: v_dual_add_nc_u32 v28, 14, v3
	s_wait_alu 0xfffd
	v_add_co_ci_u32_e32 v21, vcc_lo, v1, v21, vcc_lo
	v_add_co_u32 v22, vcc_lo, v0, v22
	v_lshlrev_b64_e32 v[26:27], 2, v[26:27]
	s_wait_alu 0xfffd
	v_add_co_ci_u32_e32 v23, vcc_lo, v1, v23, vcc_lo
	v_add_co_u32 v24, vcc_lo, v0, v24
	v_lshlrev_b64_e32 v[28:29], 2, v[28:29]
	s_wait_alu 0xfffd
	v_add_co_ci_u32_e32 v25, vcc_lo, v1, v25, vcc_lo
	v_add_co_u32 v26, vcc_lo, v0, v26
	s_wait_alu 0xfffd
	v_add_co_ci_u32_e32 v27, vcc_lo, v1, v27, vcc_lo
	v_dual_mov_b32 v31, v4 :: v_dual_add_nc_u32 v30, 16, v3
	v_add_co_u32 v28, vcc_lo, v0, v28
	s_wait_alu 0xfffd
	v_add_co_ci_u32_e32 v29, vcc_lo, v1, v29, vcc_lo
	s_wait_dscnt 0x3
	s_clause 0x1
	global_store_b32 v[8:9], v14, off
	global_store_b32 v[6:7], v15, off
	s_wait_dscnt 0x2
	s_clause 0x1
	global_store_b32 v[10:11], v16, off
	global_store_b32 v[20:21], v17, off
	;; [unrolled: 4-line block ×4, first 2 shown]
	v_dual_mov_b32 v9, v4 :: v_dual_add_nc_u32 v8, 18, v3
	v_lshlrev_b64_e32 v[30:31], 2, v[30:31]
	v_dual_mov_b32 v13, v4 :: v_dual_add_nc_u32 v12, 20, v3
	v_dual_mov_b32 v15, v4 :: v_dual_add_nc_u32 v14, 22, v3
	s_delay_alu instid0(VALU_DEP_4)
	v_lshlrev_b64_e32 v[8:9], 2, v[8:9]
	ds_load_2addr_b32 v[6:7], v5 offset0:16 offset1:18
	v_add_co_u32 v10, vcc_lo, v0, v30
	v_lshlrev_b64_e32 v[12:13], 2, v[12:13]
	v_dual_mov_b32 v19, v4 :: v_dual_add_nc_u32 v18, 24, v3
	s_wait_alu 0xfffd
	v_add_co_ci_u32_e32 v11, vcc_lo, v1, v31, vcc_lo
	ds_load_2addr_b32 v[16:17], v5 offset0:20 offset1:22
	v_add_co_u32 v8, vcc_lo, v0, v8
	v_lshlrev_b64_e32 v[14:15], 2, v[14:15]
	ds_load_b32 v2, v5 offset:96
	s_wait_alu 0xfffd
	v_add_co_ci_u32_e32 v9, vcc_lo, v1, v9, vcc_lo
	v_add_co_u32 v12, vcc_lo, v0, v12
	v_lshlrev_b64_e32 v[18:19], 2, v[18:19]
	s_wait_alu 0xfffd
	v_add_co_ci_u32_e32 v13, vcc_lo, v1, v13, vcc_lo
	v_add_co_u32 v14, vcc_lo, v0, v14
	s_wait_alu 0xfffd
	v_add_co_ci_u32_e32 v15, vcc_lo, v1, v15, vcc_lo
	v_add_co_u32 v18, vcc_lo, v0, v18
	s_wait_alu 0xfffd
	v_add_co_ci_u32_e32 v19, vcc_lo, v1, v19, vcc_lo
	v_cmp_eq_u32_e32 vcc_lo, 1, v3
	s_wait_dscnt 0x2
	s_clause 0x1
	global_store_b32 v[10:11], v6, off
	global_store_b32 v[8:9], v7, off
	s_wait_dscnt 0x1
	s_clause 0x1
	global_store_b32 v[12:13], v16, off
	global_store_b32 v[14:15], v17, off
	s_wait_dscnt 0x0
	global_store_b32 v[18:19], v2, off
	s_and_b32 exec_lo, exec_lo, vcc_lo
	s_cbranch_execz .LBB0_26
; %bb.25:
	ds_load_b32 v2, v5 offset:100
	s_wait_dscnt 0x0
	global_store_b32 v[0:1], v2, off offset:104
.LBB0_26:
	s_nop 0
	s_sendmsg sendmsg(MSG_DEALLOC_VGPRS)
	s_endpgm
	.section	.rodata,"a",@progbits
	.p2align	6, 0x0
	.amdhsa_kernel fft_rtc_back_len26_factors_13_2_wgs_64_tpt_2_halfLds_half_op_CI_CI_unitstride_sbrr_R2C_dirReg
		.amdhsa_group_segment_fixed_size 0
		.amdhsa_private_segment_fixed_size 0
		.amdhsa_kernarg_size 104
		.amdhsa_user_sgpr_count 2
		.amdhsa_user_sgpr_dispatch_ptr 0
		.amdhsa_user_sgpr_queue_ptr 0
		.amdhsa_user_sgpr_kernarg_segment_ptr 1
		.amdhsa_user_sgpr_dispatch_id 0
		.amdhsa_user_sgpr_private_segment_size 0
		.amdhsa_wavefront_size32 1
		.amdhsa_uses_dynamic_stack 0
		.amdhsa_enable_private_segment 0
		.amdhsa_system_sgpr_workgroup_id_x 1
		.amdhsa_system_sgpr_workgroup_id_y 0
		.amdhsa_system_sgpr_workgroup_id_z 0
		.amdhsa_system_sgpr_workgroup_info 0
		.amdhsa_system_vgpr_workitem_id 0
		.amdhsa_next_free_vgpr 66
		.amdhsa_next_free_sgpr 39
		.amdhsa_reserve_vcc 1
		.amdhsa_float_round_mode_32 0
		.amdhsa_float_round_mode_16_64 0
		.amdhsa_float_denorm_mode_32 3
		.amdhsa_float_denorm_mode_16_64 3
		.amdhsa_fp16_overflow 0
		.amdhsa_workgroup_processor_mode 1
		.amdhsa_memory_ordered 1
		.amdhsa_forward_progress 0
		.amdhsa_round_robin_scheduling 0
		.amdhsa_exception_fp_ieee_invalid_op 0
		.amdhsa_exception_fp_denorm_src 0
		.amdhsa_exception_fp_ieee_div_zero 0
		.amdhsa_exception_fp_ieee_overflow 0
		.amdhsa_exception_fp_ieee_underflow 0
		.amdhsa_exception_fp_ieee_inexact 0
		.amdhsa_exception_int_div_zero 0
	.end_amdhsa_kernel
	.text
.Lfunc_end0:
	.size	fft_rtc_back_len26_factors_13_2_wgs_64_tpt_2_halfLds_half_op_CI_CI_unitstride_sbrr_R2C_dirReg, .Lfunc_end0-fft_rtc_back_len26_factors_13_2_wgs_64_tpt_2_halfLds_half_op_CI_CI_unitstride_sbrr_R2C_dirReg
                                        ; -- End function
	.section	.AMDGPU.csdata,"",@progbits
; Kernel info:
; codeLenInByte = 8260
; NumSgprs: 41
; NumVgprs: 66
; ScratchSize: 0
; MemoryBound: 0
; FloatMode: 240
; IeeeMode: 1
; LDSByteSize: 0 bytes/workgroup (compile time only)
; SGPRBlocks: 5
; VGPRBlocks: 8
; NumSGPRsForWavesPerEU: 41
; NumVGPRsForWavesPerEU: 66
; Occupancy: 16
; WaveLimiterHint : 1
; COMPUTE_PGM_RSRC2:SCRATCH_EN: 0
; COMPUTE_PGM_RSRC2:USER_SGPR: 2
; COMPUTE_PGM_RSRC2:TRAP_HANDLER: 0
; COMPUTE_PGM_RSRC2:TGID_X_EN: 1
; COMPUTE_PGM_RSRC2:TGID_Y_EN: 0
; COMPUTE_PGM_RSRC2:TGID_Z_EN: 0
; COMPUTE_PGM_RSRC2:TIDIG_COMP_CNT: 0
	.text
	.p2alignl 7, 3214868480
	.fill 96, 4, 3214868480
	.type	__hip_cuid_3db99c9932ddc9d8,@object ; @__hip_cuid_3db99c9932ddc9d8
	.section	.bss,"aw",@nobits
	.globl	__hip_cuid_3db99c9932ddc9d8
__hip_cuid_3db99c9932ddc9d8:
	.byte	0                               ; 0x0
	.size	__hip_cuid_3db99c9932ddc9d8, 1

	.ident	"AMD clang version 19.0.0git (https://github.com/RadeonOpenCompute/llvm-project roc-6.4.0 25133 c7fe45cf4b819c5991fe208aaa96edf142730f1d)"
	.section	".note.GNU-stack","",@progbits
	.addrsig
	.addrsig_sym __hip_cuid_3db99c9932ddc9d8
	.amdgpu_metadata
---
amdhsa.kernels:
  - .args:
      - .actual_access:  read_only
        .address_space:  global
        .offset:         0
        .size:           8
        .value_kind:     global_buffer
      - .offset:         8
        .size:           8
        .value_kind:     by_value
      - .actual_access:  read_only
        .address_space:  global
        .offset:         16
        .size:           8
        .value_kind:     global_buffer
      - .actual_access:  read_only
        .address_space:  global
        .offset:         24
        .size:           8
        .value_kind:     global_buffer
      - .actual_access:  read_only
        .address_space:  global
        .offset:         32
        .size:           8
        .value_kind:     global_buffer
      - .offset:         40
        .size:           8
        .value_kind:     by_value
      - .actual_access:  read_only
        .address_space:  global
        .offset:         48
        .size:           8
        .value_kind:     global_buffer
      - .actual_access:  read_only
        .address_space:  global
        .offset:         56
        .size:           8
        .value_kind:     global_buffer
      - .offset:         64
        .size:           4
        .value_kind:     by_value
      - .actual_access:  read_only
        .address_space:  global
        .offset:         72
        .size:           8
        .value_kind:     global_buffer
      - .actual_access:  read_only
        .address_space:  global
        .offset:         80
        .size:           8
        .value_kind:     global_buffer
      - .actual_access:  read_only
        .address_space:  global
        .offset:         88
        .size:           8
        .value_kind:     global_buffer
      - .actual_access:  write_only
        .address_space:  global
        .offset:         96
        .size:           8
        .value_kind:     global_buffer
    .group_segment_fixed_size: 0
    .kernarg_segment_align: 8
    .kernarg_segment_size: 104
    .language:       OpenCL C
    .language_version:
      - 2
      - 0
    .max_flat_workgroup_size: 64
    .name:           fft_rtc_back_len26_factors_13_2_wgs_64_tpt_2_halfLds_half_op_CI_CI_unitstride_sbrr_R2C_dirReg
    .private_segment_fixed_size: 0
    .sgpr_count:     41
    .sgpr_spill_count: 0
    .symbol:         fft_rtc_back_len26_factors_13_2_wgs_64_tpt_2_halfLds_half_op_CI_CI_unitstride_sbrr_R2C_dirReg.kd
    .uniform_work_group_size: 1
    .uses_dynamic_stack: false
    .vgpr_count:     66
    .vgpr_spill_count: 0
    .wavefront_size: 32
    .workgroup_processor_mode: 1
amdhsa.target:   amdgcn-amd-amdhsa--gfx1201
amdhsa.version:
  - 1
  - 2
...

	.end_amdgpu_metadata
